;; amdgpu-corpus repo=ROCm/rocFFT kind=compiled arch=gfx1201 opt=O3
	.text
	.amdgcn_target "amdgcn-amd-amdhsa--gfx1201"
	.amdhsa_code_object_version 6
	.protected	fft_rtc_fwd_len125_factors_5_5_5_wgs_250_tpt_25_dim3_dp_op_CI_CI_sbcc_twdbase6_3step_dirReg_intrinsicReadWrite ; -- Begin function fft_rtc_fwd_len125_factors_5_5_5_wgs_250_tpt_25_dim3_dp_op_CI_CI_sbcc_twdbase6_3step_dirReg_intrinsicReadWrite
	.globl	fft_rtc_fwd_len125_factors_5_5_5_wgs_250_tpt_25_dim3_dp_op_CI_CI_sbcc_twdbase6_3step_dirReg_intrinsicReadWrite
	.p2align	8
	.type	fft_rtc_fwd_len125_factors_5_5_5_wgs_250_tpt_25_dim3_dp_op_CI_CI_sbcc_twdbase6_3step_dirReg_intrinsicReadWrite,@function
fft_rtc_fwd_len125_factors_5_5_5_wgs_250_tpt_25_dim3_dp_op_CI_CI_sbcc_twdbase6_3step_dirReg_intrinsicReadWrite: ; @fft_rtc_fwd_len125_factors_5_5_5_wgs_250_tpt_25_dim3_dp_op_CI_CI_sbcc_twdbase6_3step_dirReg_intrinsicReadWrite
; %bb.0:
	s_load_b128 s[4:7], s[0:1], 0x10
	s_mov_b32 s8, ttmp9
	s_mov_b32 s2, exec_lo
	v_cmpx_gt_u32_e32 0xc0, v0
	s_cbranch_execz .LBB0_2
; %bb.1:
	s_load_b64 s[10:11], s[0:1], 0x8
	v_lshlrev_b32_e32 v5, 4, v0
	s_wait_kmcnt 0x0
	global_load_b128 v[1:4], v5, s[10:11]
	v_add3_u32 v5, 0, v5, 0x4e20
	s_wait_loadcnt 0x0
	ds_store_2addr_b64 v5, v[1:2], v[3:4] offset1:1
.LBB0_2:
	s_or_b32 exec_lo, exec_lo, s2
	s_mov_b32 s9, 0
	s_mov_b32 s2, 0x99986000
	s_movk_i32 s3, 0x59
	s_mov_b32 s10, s9
	s_mov_b32 s11, s9
	s_wait_kmcnt 0x0
	s_load_b64 s[16:17], s[4:5], 0x8
	s_add_nc_u64 s[2:3], s[10:11], s[2:3]
	s_mov_b32 s15, s9
	s_add_co_i32 s3, s3, 0x19999940
	s_mov_b64 s[20:21], 0
	s_mul_u64 s[10:11], s[2:3], -10
	s_delay_alu instid0(SALU_CYCLE_1)
	s_mul_hi_u32 s13, s2, s11
	s_mul_i32 s12, s2, s11
	s_mul_hi_u32 s14, s2, s10
	s_mul_hi_u32 s18, s3, s10
	s_mul_i32 s10, s3, s10
	s_add_nc_u64 s[12:13], s[14:15], s[12:13]
	s_mul_hi_u32 s14, s3, s11
	s_add_co_u32 s10, s12, s10
	s_add_co_ci_u32 s10, s13, s18
	s_add_co_ci_u32 s13, s14, 0
	s_mul_i32 s12, s3, s11
	s_mov_b32 s11, s9
	s_delay_alu instid0(SALU_CYCLE_1) | instskip(SKIP_3) | instid1(VALU_DEP_1)
	s_add_nc_u64 s[10:11], s[10:11], s[12:13]
	s_wait_kmcnt 0x0
	s_add_nc_u64 s[12:13], s[16:17], -1
	v_add_co_u32 v1, s2, s2, s10
	s_cmp_lg_u32 s2, 0
	s_add_co_ci_u32 s15, s3, s11
	s_delay_alu instid0(VALU_DEP_1) | instskip(SKIP_3) | instid1(VALU_DEP_1)
	v_readfirstlane_b32 s14, v1
	s_mul_hi_u32 s3, s12, s15
	s_mul_i32 s2, s12, s15
	s_mov_b32 s11, s9
	s_mul_hi_u32 s10, s12, s14
	s_wait_alu 0xfffe
	s_add_nc_u64 s[2:3], s[10:11], s[2:3]
	s_mul_i32 s11, s13, s14
	s_mul_hi_u32 s14, s13, s14
	s_mul_hi_u32 s10, s13, s15
	s_wait_alu 0xfffe
	s_add_co_u32 s2, s2, s11
	s_add_co_ci_u32 s2, s3, s14
	s_add_co_ci_u32 s11, s10, 0
	s_mul_i32 s10, s13, s15
	s_mov_b32 s3, s9
	s_wait_alu 0xfffe
	s_add_nc_u64 s[2:3], s[2:3], s[10:11]
	s_wait_alu 0xfffe
	s_mul_u64 s[10:11], s[2:3], 10
	s_wait_alu 0xfffe
	v_sub_co_u32 v1, s10, s12, s10
	s_delay_alu instid0(VALU_DEP_1) | instskip(SKIP_1) | instid1(VALU_DEP_1)
	s_cmp_lg_u32 s10, 0
	s_sub_co_ci_u32 s14, s13, s11
	v_sub_co_u32 v2, s12, v1, 10
	s_delay_alu instid0(VALU_DEP_1) | instskip(SKIP_2) | instid1(VALU_DEP_2)
	s_cmp_lg_u32 s12, 0
	v_readfirstlane_b32 s18, v1
	s_sub_co_ci_u32 s12, s14, 0
	v_readfirstlane_b32 s10, v2
	s_delay_alu instid0(VALU_DEP_1)
	s_cmp_gt_u32 s10, 9
	s_add_nc_u64 s[10:11], s[2:3], 1
	s_cselect_b32 s15, -1, 0
	s_wait_alu 0xfffe
	s_cmp_eq_u32 s12, 0
	s_add_nc_u64 s[12:13], s[2:3], 2
	s_cselect_b32 s15, s15, -1
	s_delay_alu instid0(SALU_CYCLE_1)
	s_cmp_lg_u32 s15, 0
	s_wait_alu 0xfffe
	s_cselect_b32 s10, s12, s10
	s_cselect_b32 s11, s13, s11
	s_cmp_gt_u32 s18, 9
	s_cselect_b32 s12, -1, 0
	s_cmp_eq_u32 s14, 0
	s_wait_alu 0xfffe
	s_cselect_b32 s12, s12, -1
	s_wait_alu 0xfffe
	s_cmp_lg_u32 s12, 0
	s_cselect_b32 s3, s11, s3
	s_cselect_b32 s2, s10, s2
	s_wait_alu 0xfffe
	s_add_nc_u64 s[14:15], s[2:3], 1
	s_delay_alu instid0(SALU_CYCLE_1) | instskip(NEXT) | instid1(VALU_DEP_1)
	v_cmp_lt_u64_e64 s2, s[8:9], s[14:15]
	s_and_b32 vcc_lo, exec_lo, s2
	s_cbranch_vccnz .LBB0_4
; %bb.3:
	v_cvt_f32_u32_e32 v1, s14
	s_sub_co_i32 s3, 0, s14
	s_mov_b32 s21, s9
	s_delay_alu instid0(VALU_DEP_1) | instskip(NEXT) | instid1(TRANS32_DEP_1)
	v_rcp_iflag_f32_e32 v1, v1
	v_mul_f32_e32 v1, 0x4f7ffffe, v1
	s_delay_alu instid0(VALU_DEP_1) | instskip(NEXT) | instid1(VALU_DEP_1)
	v_cvt_u32_f32_e32 v1, v1
	v_readfirstlane_b32 s2, v1
	s_wait_alu 0xfffe
	s_delay_alu instid0(VALU_DEP_1)
	s_mul_i32 s3, s3, s2
	s_wait_alu 0xfffe
	s_mul_hi_u32 s3, s2, s3
	s_wait_alu 0xfffe
	s_add_co_i32 s2, s2, s3
	s_wait_alu 0xfffe
	s_mul_hi_u32 s2, s8, s2
	s_wait_alu 0xfffe
	s_mul_i32 s3, s2, s14
	s_add_co_i32 s10, s2, 1
	s_wait_alu 0xfffe
	s_sub_co_i32 s3, s8, s3
	s_wait_alu 0xfffe
	s_sub_co_i32 s11, s3, s14
	s_cmp_ge_u32 s3, s14
	s_cselect_b32 s2, s10, s2
	s_wait_alu 0xfffe
	s_cselect_b32 s3, s11, s3
	s_add_co_i32 s10, s2, 1
	s_wait_alu 0xfffe
	s_cmp_ge_u32 s3, s14
	s_cselect_b32 s20, s10, s2
.LBB0_4:
	s_load_b64 s[12:13], s[4:5], 0x10
	s_load_b64 s[4:5], s[6:7], 0x8
	s_wait_kmcnt 0x0
	v_cmp_lt_u64_e64 s2, s[20:21], s[12:13]
	s_delay_alu instid0(VALU_DEP_1)
	s_and_b32 vcc_lo, exec_lo, s2
	s_mov_b64 s[2:3], s[20:21]
	s_cbranch_vccnz .LBB0_6
; %bb.5:
	v_cvt_f32_u32_e32 v1, s12
	s_sub_co_i32 s3, 0, s12
	s_delay_alu instid0(VALU_DEP_1) | instskip(NEXT) | instid1(TRANS32_DEP_1)
	v_rcp_iflag_f32_e32 v1, v1
	v_mul_f32_e32 v1, 0x4f7ffffe, v1
	s_delay_alu instid0(VALU_DEP_1) | instskip(NEXT) | instid1(VALU_DEP_1)
	v_cvt_u32_f32_e32 v1, v1
	v_readfirstlane_b32 s2, v1
	s_wait_alu 0xfffe
	s_delay_alu instid0(VALU_DEP_1)
	s_mul_i32 s3, s3, s2
	s_wait_alu 0xfffe
	s_mul_hi_u32 s3, s2, s3
	s_wait_alu 0xfffe
	s_add_co_i32 s2, s2, s3
	s_wait_alu 0xfffe
	s_mul_hi_u32 s2, s20, s2
	s_wait_alu 0xfffe
	s_mul_i32 s2, s2, s12
	s_wait_alu 0xfffe
	s_sub_co_i32 s2, s20, s2
	s_wait_alu 0xfffe
	s_sub_co_i32 s3, s2, s12
	s_cmp_ge_u32 s2, s12
	s_wait_alu 0xfffe
	s_cselect_b32 s2, s3, s2
	s_mov_b32 s3, 0
	s_wait_alu 0xfffe
	s_sub_co_i32 s10, s2, s12
	s_cmp_ge_u32 s2, s12
	s_wait_alu 0xfffe
	s_cselect_b32 s2, s10, s2
.LBB0_6:
	s_load_b64 s[10:11], s[0:1], 0x58
	s_clause 0x1
	s_load_b64 s[18:19], s[6:7], 0x0
	s_load_b64 s[22:23], s[6:7], 0x10
	s_mul_u64 s[24:25], s[12:13], s[14:15]
	s_delay_alu instid0(SALU_CYCLE_1) | instskip(NEXT) | instid1(VALU_DEP_1)
	v_cmp_lt_u64_e64 s12, s[8:9], s[24:25]
	s_and_b32 vcc_lo, exec_lo, s12
	s_mov_b64 s[12:13], 0
	s_cbranch_vccnz .LBB0_8
; %bb.7:
	v_cvt_f32_u32_e32 v1, s24
	s_sub_co_i32 s13, 0, s24
	s_delay_alu instid0(VALU_DEP_1) | instskip(NEXT) | instid1(TRANS32_DEP_1)
	v_rcp_iflag_f32_e32 v1, v1
	v_mul_f32_e32 v1, 0x4f7ffffe, v1
	s_delay_alu instid0(VALU_DEP_1) | instskip(NEXT) | instid1(VALU_DEP_1)
	v_cvt_u32_f32_e32 v1, v1
	v_readfirstlane_b32 s12, v1
	s_wait_alu 0xfffe
	s_delay_alu instid0(VALU_DEP_1)
	s_mul_i32 s13, s13, s12
	s_wait_alu 0xfffe
	s_mul_hi_u32 s13, s12, s13
	s_wait_alu 0xfffe
	s_add_co_i32 s12, s12, s13
	s_wait_alu 0xfffe
	s_mul_hi_u32 s12, s8, s12
	s_wait_alu 0xfffe
	s_mul_i32 s13, s12, s24
	s_wait_kmcnt 0x0
	s_add_co_i32 s19, s12, 1
	s_wait_alu 0xfffe
	s_sub_co_i32 s13, s8, s13
	s_wait_alu 0xfffe
	s_sub_co_i32 s25, s13, s24
	s_cmp_ge_u32 s13, s24
	s_cselect_b32 s12, s19, s12
	s_wait_alu 0xfffe
	s_cselect_b32 s13, s25, s13
	s_add_co_i32 s19, s12, 1
	s_wait_alu 0xfffe
	s_cmp_ge_u32 s13, s24
	s_mov_b32 s13, 0
	s_cselect_b32 s12, s19, s12
.LBB0_8:
	v_mul_u32_u24_e32 v1, 0x199a, v0
	s_load_b64 s[6:7], s[6:7], 0x18
	s_mul_u64 s[14:15], s[20:21], s[14:15]
	v_mov_b32_e32 v3, 0
	s_wait_alu 0xfffe
	s_sub_nc_u64 s[8:9], s[8:9], s[14:15]
	v_lshrrev_b32_e32 v26, 16, v1
	s_wait_alu 0xfffe
	s_mul_u64 s[14:15], s[8:9], 10
	s_wait_kmcnt 0x0
	s_mul_u64 s[20:21], s[22:23], s[2:3]
	s_wait_alu 0xfffe
	s_add_nc_u64 s[22:23], s[14:15], 10
	s_mul_u64 s[8:9], s[4:5], s[14:15]
	v_mul_lo_u16 v1, v26, 10
	s_wait_alu 0xfffe
	s_add_nc_u64 s[8:9], s[20:21], s[8:9]
	v_mov_b32_e32 v4, 0
	s_delay_alu instid0(VALU_DEP_2) | instskip(NEXT) | instid1(VALU_DEP_2)
	v_sub_nc_u16 v1, v0, v1
	v_dual_mov_b32 v8, v4 :: v_dual_mov_b32 v7, v3
	s_delay_alu instid0(VALU_DEP_2)
	v_dual_mov_b32 v6, v4 :: v_dual_and_b32 v25, 0xffff, v1
	s_mul_u64 s[6:7], s[6:7], s[12:13]
	v_mov_b32_e32 v5, v3
	s_wait_alu 0xfffe
	s_add_nc_u64 s[6:7], s[6:7], s[8:9]
	v_mad_co_u64_u32 v[23:24], null, s4, v25, 0
	v_add_co_u32 v21, s3, s14, v25
	s_wait_alu 0xf1ff
	v_add_co_ci_u32_e64 v22, null, s15, 0, s3
	v_cmp_le_u64_e64 s3, s[22:23], s[16:17]
	s_delay_alu instid0(VALU_DEP_4) | instskip(NEXT) | instid1(VALU_DEP_3)
	v_mov_b32_e32 v1, v24
	v_cmp_gt_u64_e32 vcc_lo, s[16:17], v[21:22]
	s_delay_alu instid0(VALU_DEP_2) | instskip(NEXT) | instid1(VALU_DEP_4)
	v_mad_co_u64_u32 v[1:2], null, s5, v25, v[1:2]
	s_or_b32 s3, s3, vcc_lo
                                        ; kill: def $vgpr1 killed $sgpr0 killed $exec
	s_wait_alu 0xfffe
	s_and_saveexec_b32 s4, s3
	s_cbranch_execz .LBB0_10
; %bb.9:
	v_mul_lo_u32 v1, s18, v26
	v_mov_b32_e32 v2, 0
	s_delay_alu instid0(VALU_DEP_2) | instskip(NEXT) | instid1(VALU_DEP_1)
	v_add3_u32 v1, s6, v23, v1
	v_lshlrev_b64_e32 v[1:2], 4, v[1:2]
	s_delay_alu instid0(VALU_DEP_1) | instskip(NEXT) | instid1(VALU_DEP_2)
	v_add_co_u32 v1, vcc_lo, s10, v1
	v_add_co_ci_u32_e32 v2, vcc_lo, s11, v2, vcc_lo
	global_load_b128 v[5:8], v[1:2], off
.LBB0_10:
	s_wait_alu 0xfffe
	s_or_b32 exec_lo, exec_lo, s4
	v_dual_mov_b32 v1, v3 :: v_dual_mov_b32 v2, v4
	s_and_saveexec_b32 s4, s3
	s_cbranch_execz .LBB0_12
; %bb.11:
	v_dual_mov_b32 v2, 0 :: v_dual_add_nc_u32 v1, 25, v26
	s_delay_alu instid0(VALU_DEP_1) | instskip(NEXT) | instid1(VALU_DEP_1)
	v_mul_lo_u32 v1, s18, v1
	v_add3_u32 v1, s6, v23, v1
	s_delay_alu instid0(VALU_DEP_1) | instskip(NEXT) | instid1(VALU_DEP_1)
	v_lshlrev_b64_e32 v[1:2], 4, v[1:2]
	v_add_co_u32 v1, vcc_lo, s10, v1
	s_wait_alu 0xfffd
	s_delay_alu instid0(VALU_DEP_2)
	v_add_co_ci_u32_e32 v2, vcc_lo, s11, v2, vcc_lo
	global_load_b128 v[1:4], v[1:2], off
.LBB0_12:
	s_wait_alu 0xfffe
	s_or_b32 exec_lo, exec_lo, s4
	v_mov_b32_e32 v11, 0
	v_mov_b32_e32 v12, 0
	s_delay_alu instid0(VALU_DEP_1)
	v_dual_mov_b32 v16, v12 :: v_dual_mov_b32 v15, v11
	v_dual_mov_b32 v14, v12 :: v_dual_mov_b32 v13, v11
	s_and_saveexec_b32 s4, s3
	s_cbranch_execz .LBB0_14
; %bb.13:
	v_dual_mov_b32 v10, 0 :: v_dual_add_nc_u32 v9, 50, v26
	s_delay_alu instid0(VALU_DEP_1) | instskip(NEXT) | instid1(VALU_DEP_1)
	v_mul_lo_u32 v9, s18, v9
	v_add3_u32 v9, s6, v23, v9
	s_delay_alu instid0(VALU_DEP_1) | instskip(NEXT) | instid1(VALU_DEP_1)
	v_lshlrev_b64_e32 v[9:10], 4, v[9:10]
	v_add_co_u32 v9, vcc_lo, s10, v9
	s_wait_alu 0xfffd
	s_delay_alu instid0(VALU_DEP_2)
	v_add_co_ci_u32_e32 v10, vcc_lo, s11, v10, vcc_lo
	global_load_b128 v[13:16], v[9:10], off
.LBB0_14:
	s_wait_alu 0xfffe
	s_or_b32 exec_lo, exec_lo, s4
	s_clause 0x1
	s_load_b64 s[4:5], s[0:1], 0x20
	s_load_b64 s[26:27], s[0:1], 0x0
	v_dual_mov_b32 v9, v11 :: v_dual_mov_b32 v10, v12
	s_and_saveexec_b32 s7, s3
	s_cbranch_execz .LBB0_16
; %bb.15:
	v_dual_mov_b32 v10, 0 :: v_dual_add_nc_u32 v9, 0x4b, v26
	s_delay_alu instid0(VALU_DEP_1) | instskip(NEXT) | instid1(VALU_DEP_1)
	v_mul_lo_u32 v9, s18, v9
	v_add3_u32 v9, s6, v23, v9
	s_delay_alu instid0(VALU_DEP_1) | instskip(NEXT) | instid1(VALU_DEP_1)
	v_lshlrev_b64_e32 v[9:10], 4, v[9:10]
	v_add_co_u32 v9, vcc_lo, s10, v9
	s_wait_alu 0xfffd
	s_delay_alu instid0(VALU_DEP_2)
	v_add_co_ci_u32_e32 v10, vcc_lo, s11, v10, vcc_lo
	global_load_b128 v[9:12], v[9:10], off
.LBB0_16:
	s_wait_alu 0xfffe
	s_or_b32 exec_lo, exec_lo, s7
	v_mov_b32_e32 v19, 0
	v_mov_b32_e32 v20, 0
	s_delay_alu instid0(VALU_DEP_1)
	v_dual_mov_b32 v17, v19 :: v_dual_mov_b32 v18, v20
	s_and_saveexec_b32 s7, s3
	s_cbranch_execz .LBB0_18
; %bb.17:
	v_dual_mov_b32 v18, 0 :: v_dual_add_nc_u32 v17, 0x64, v26
	s_delay_alu instid0(VALU_DEP_1) | instskip(NEXT) | instid1(VALU_DEP_1)
	v_mul_lo_u32 v17, s18, v17
	v_add3_u32 v17, s6, v23, v17
	s_delay_alu instid0(VALU_DEP_1) | instskip(NEXT) | instid1(VALU_DEP_1)
	v_lshlrev_b64_e32 v[17:18], 4, v[17:18]
	v_add_co_u32 v17, vcc_lo, s10, v17
	s_wait_alu 0xfffd
	s_delay_alu instid0(VALU_DEP_2)
	v_add_co_ci_u32_e32 v18, vcc_lo, s11, v18, vcc_lo
	global_load_b128 v[17:20], v[17:18], off
.LBB0_18:
	s_wait_alu 0xfffe
	s_or_b32 exec_lo, exec_lo, s7
	s_wait_loadcnt 0x0
	v_add_f64_e32 v[22:23], v[13:14], v[9:10]
	v_add_f64_e32 v[29:30], v[15:16], v[11:12]
	;; [unrolled: 1-line block ×6, first 2 shown]
	v_add_f64_e64 v[35:36], v[3:4], -v[19:20]
	v_add_f64_e64 v[41:42], v[1:2], -v[17:18]
	;; [unrolled: 1-line block ×3, first 2 shown]
	s_mov_b32 s16, 0x134454ff
	s_mov_b32 s17, 0x3fee6f0e
	;; [unrolled: 1-line block ×3, first 2 shown]
	s_wait_alu 0xfffe
	s_mov_b32 s20, s16
	v_add_f64_e64 v[43:44], v[17:18], -v[9:10]
	v_add_f64_e64 v[45:46], v[9:10], -v[17:18]
	;; [unrolled: 1-line block ×6, first 2 shown]
	s_mov_b32 s22, 0x4755a5e
	s_mov_b32 s23, 0x3fe2cf23
	;; [unrolled: 1-line block ×3, first 2 shown]
	s_wait_alu 0xfffe
	s_mov_b32 s24, s22
	s_mov_b32 s18, 0x372fe950
	;; [unrolled: 1-line block ×3, first 2 shown]
	v_lshlrev_b32_e32 v24, 4, v25
	s_wait_kmcnt 0x0
	s_load_b256 s[4:11], s[4:5], 0x0
	v_and_b32_e32 v0, 0xffff, v0
	v_fma_f64 v[22:23], v[22:23], -0.5, v[5:6]
	v_fma_f64 v[29:30], v[29:30], -0.5, v[7:8]
	;; [unrolled: 1-line block ×3, first 2 shown]
	v_add_f64_e64 v[27:28], v[13:14], -v[9:10]
	v_fma_f64 v[7:8], v[31:32], -0.5, v[7:8]
	v_add_f64_e64 v[31:32], v[1:2], -v[13:14]
	v_add_f64_e64 v[1:2], v[13:14], -v[1:2]
	v_add_f64_e32 v[13:14], v[33:34], v[13:14]
	v_add_f64_e32 v[15:16], v[39:40], v[15:16]
	v_fma_f64 v[33:34], v[35:36], s[16:17], v[22:23]
	v_fma_f64 v[22:23], v[35:36], s[20:21], v[22:23]
	;; [unrolled: 1-line block ×8, first 2 shown]
	v_add_f64_e32 v[31:32], v[31:32], v[43:44]
	v_add_f64_e32 v[43:44], v[1:2], v[45:46]
	;; [unrolled: 1-line block ×6, first 2 shown]
	v_fma_f64 v[9:10], v[37:38], s[22:23], v[33:34]
	v_fma_f64 v[11:12], v[37:38], s[24:25], v[22:23]
	;; [unrolled: 1-line block ×8, first 2 shown]
	v_add_f64_e32 v[1:2], v[1:2], v[17:18]
	v_add_f64_e32 v[3:4], v[3:4], v[19:20]
	v_fma_f64 v[5:6], v[31:32], s[18:19], v[9:10]
	v_fma_f64 v[9:10], v[31:32], s[18:19], v[11:12]
	;; [unrolled: 1-line block ×8, first 2 shown]
	v_mul_lo_u16 v22, v26, 52
	v_mul_u32_u24_e32 v23, 0x320, v26
	s_delay_alu instid0(VALU_DEP_2) | instskip(NEXT) | instid1(VALU_DEP_1)
	v_lshrrev_b16 v22, 8, v22
	v_mul_lo_u16 v22, v22, 5
	s_delay_alu instid0(VALU_DEP_1) | instskip(NEXT) | instid1(VALU_DEP_1)
	v_sub_nc_u16 v22, v26, v22
	v_and_b32_e32 v59, 0xff, v22
	v_add3_u32 v22, 0, v23, v24
	ds_store_b128 v22, v[1:4]
	ds_store_b128 v22, v[5:8] offset:160
	ds_store_b128 v22, v[13:16] offset:320
	;; [unrolled: 1-line block ×4, first 2 shown]
	v_lshlrev_b32_e32 v23, 6, v59
	global_wb scope:SCOPE_SE
	s_wait_dscnt 0x0
	s_wait_kmcnt 0x0
	s_barrier_signal -1
	s_barrier_wait -1
	global_inv scope:SCOPE_SE
	s_clause 0x3
	global_load_b128 v[3:6], v23, s[26:27]
	global_load_b128 v[7:10], v23, s[26:27] offset:16
	global_load_b128 v[11:14], v23, s[26:27] offset:32
	;; [unrolled: 1-line block ×3, first 2 shown]
	v_mad_i32_i24 v2, 0xfffffd80, v26, v22
	ds_load_b128 v[27:30], v2 offset:4000
	ds_load_b128 v[31:34], v2 offset:8000
	;; [unrolled: 1-line block ×4, first 2 shown]
	v_mul_u32_u24_e32 v1, 0x51f, v0
	s_delay_alu instid0(VALU_DEP_1) | instskip(NEXT) | instid1(VALU_DEP_1)
	v_lshrrev_b32_e32 v1, 16, v1
	v_mul_lo_u16 v1, v1, 25
	s_delay_alu instid0(VALU_DEP_1) | instskip(NEXT) | instid1(VALU_DEP_1)
	v_and_b32_e32 v1, 0xffff, v1
	v_add_nc_u32_e32 v1, v1, v59
	s_delay_alu instid0(VALU_DEP_1) | instskip(NEXT) | instid1(VALU_DEP_1)
	v_mul_u32_u24_e32 v1, 0xa0, v1
	v_add3_u32 v1, 0, v1, v24
	s_wait_loadcnt_dscnt 0x303
	v_mul_f64_e32 v[19:20], v[29:30], v[5:6]
	s_wait_loadcnt_dscnt 0x202
	v_mul_f64_e32 v[22:23], v[33:34], v[9:10]
	;; [unrolled: 2-line block ×4, first 2 shown]
	v_mul_f64_e32 v[9:10], v[31:32], v[9:10]
	v_mul_f64_e32 v[13:14], v[35:36], v[13:14]
	;; [unrolled: 1-line block ×4, first 2 shown]
	v_fma_f64 v[19:20], v[27:28], v[3:4], -v[19:20]
	v_fma_f64 v[22:23], v[31:32], v[7:8], -v[22:23]
	;; [unrolled: 1-line block ×4, first 2 shown]
	v_fma_f64 v[7:8], v[33:34], v[7:8], v[9:10]
	v_fma_f64 v[9:10], v[37:38], v[11:12], v[13:14]
	;; [unrolled: 1-line block ×4, first 2 shown]
	ds_load_b128 v[3:6], v2
	global_wb scope:SCOPE_SE
	s_wait_dscnt 0x0
	s_barrier_signal -1
	s_barrier_wait -1
	global_inv scope:SCOPE_SE
	v_add_f64_e32 v[35:36], v[3:4], v[19:20]
	v_add_f64_e32 v[13:14], v[22:23], v[27:28]
	;; [unrolled: 1-line block ×3, first 2 shown]
	v_add_f64_e64 v[43:44], v[19:20], -v[31:32]
	v_add_f64_e32 v[17:18], v[7:8], v[9:10]
	v_add_f64_e32 v[41:42], v[5:6], v[29:30]
	;; [unrolled: 1-line block ×3, first 2 shown]
	v_add_f64_e64 v[37:38], v[29:30], -v[11:12]
	v_add_f64_e64 v[39:40], v[7:8], -v[9:10]
	v_add_f64_e64 v[49:50], v[29:30], -v[7:8]
	v_add_f64_e64 v[29:30], v[7:8], -v[29:30]
	v_add_f64_e64 v[45:46], v[31:32], -v[27:28]
	v_add_f64_e64 v[51:52], v[11:12], -v[9:10]
	v_add_f64_e64 v[47:48], v[27:28], -v[31:32]
	v_add_f64_e64 v[53:54], v[9:10], -v[11:12]
	v_fma_f64 v[13:14], v[13:14], -0.5, v[3:4]
	v_fma_f64 v[3:4], v[15:16], -0.5, v[3:4]
	v_add_f64_e64 v[15:16], v[22:23], -v[27:28]
	v_fma_f64 v[17:18], v[17:18], -0.5, v[5:6]
	v_add_f64_e32 v[7:8], v[41:42], v[7:8]
	v_fma_f64 v[5:6], v[33:34], -0.5, v[5:6]
	v_add_f64_e64 v[33:34], v[19:20], -v[22:23]
	v_add_f64_e64 v[19:20], v[22:23], -v[19:20]
	v_add_f64_e32 v[22:23], v[35:36], v[22:23]
	v_add_f64_e32 v[29:30], v[29:30], v[53:54]
	v_fma_f64 v[35:36], v[37:38], s[16:17], v[13:14]
	v_fma_f64 v[41:42], v[39:40], s[20:21], v[3:4]
	;; [unrolled: 1-line block ×8, first 2 shown]
	v_add_f64_e32 v[22:23], v[22:23], v[27:28]
	v_add_f64_e32 v[7:8], v[7:8], v[9:10]
	;; [unrolled: 1-line block ×5, first 2 shown]
	v_fma_f64 v[9:10], v[39:40], s[22:23], v[35:36]
	v_fma_f64 v[27:28], v[37:38], s[22:23], v[41:42]
	;; [unrolled: 1-line block ×8, first 2 shown]
	v_add_f64_e32 v[3:4], v[22:23], v[31:32]
	v_add_f64_e32 v[5:6], v[7:8], v[11:12]
	v_fma_f64 v[7:8], v[33:34], s[18:19], v[9:10]
	v_fma_f64 v[15:16], v[19:20], s[18:19], v[27:28]
	;; [unrolled: 1-line block ×8, first 2 shown]
	ds_store_b128 v1, v[3:6]
	ds_store_b128 v1, v[7:10] offset:800
	ds_store_b128 v1, v[15:18] offset:1600
	;; [unrolled: 1-line block ×4, first 2 shown]
	global_wb scope:SCOPE_SE
	s_wait_dscnt 0x0
	s_barrier_signal -1
	s_barrier_wait -1
	global_inv scope:SCOPE_SE
	s_and_saveexec_b32 s5, s3
	s_cbranch_execz .LBB0_20
; %bb.19:
	v_mul_lo_u16 v1, v26, 21
	v_mul_lo_u32 v68, 0xffffffe7, v21
	s_add_co_i32 s3, 0, 0x4e20
	v_mul_u32_u24_e32 v0, 0x107, v0
	s_mul_i32 s2, s8, s2
	v_lshrrev_b16 v1, 9, v1
	s_mul_i32 s5, s10, s12
	s_load_b64 s[0:1], s[0:1], 0x60
	v_lshrrev_b32_e32 v0, 16, v0
	s_delay_alu instid0(VALU_DEP_2) | instskip(NEXT) | instid1(VALU_DEP_2)
	v_mul_lo_u16 v1, v1, 25
	v_mul_lo_u16 v0, 0x7d, v0
	s_delay_alu instid0(VALU_DEP_2) | instskip(NEXT) | instid1(VALU_DEP_2)
	v_sub_nc_u16 v1, v26, v1
	v_and_b32_e32 v0, 0xffff, v0
	s_delay_alu instid0(VALU_DEP_2) | instskip(NEXT) | instid1(VALU_DEP_1)
	v_and_b32_e32 v1, 0xff, v1
	v_lshlrev_b32_e32 v15, 6, v1
	v_mul_lo_u32 v86, v1, v21
	s_delay_alu instid0(VALU_DEP_4)
	v_add_nc_u32_e32 v0, v0, v1
	s_clause 0x3
	global_load_b128 v[3:6], v15, s[26:27] offset:320
	global_load_b128 v[7:10], v15, s[26:27] offset:368
	global_load_b128 v[11:14], v15, s[26:27] offset:336
	global_load_b128 v[15:18], v15, s[26:27] offset:352
	ds_load_b128 v[26:29], v2 offset:4000
	ds_load_b128 v[30:33], v2 offset:16000
	;; [unrolled: 1-line block ×4, first 2 shown]
	ds_load_b128 v[42:45], v2
	v_add_nc_u32_e32 v2, 0x64, v1
	v_mul_lo_u32 v1, s4, v0
	s_delay_alu instid0(VALU_DEP_2) | instskip(SKIP_1) | instid1(VALU_DEP_1)
	v_mul_lo_u32 v87, v2, v21
	v_and_b32_e32 v2, 63, v86
	v_lshl_add_u32 v2, v2, 4, 0
	s_delay_alu instid0(VALU_DEP_3) | instskip(SKIP_1) | instid1(VALU_DEP_2)
	v_add_nc_u32_e32 v59, v87, v68
	v_lshrrev_b32_e32 v58, 2, v87
	v_lshrrev_b32_e32 v62, 2, v59
	v_and_b32_e32 v69, 63, v59
	v_add_nc_u32_e32 v90, v59, v68
	s_wait_loadcnt_dscnt 0x304
	v_mul_f64_e32 v[46:47], v[28:29], v[5:6]
	s_wait_loadcnt_dscnt 0x203
	v_mul_f64_e32 v[48:49], v[32:33], v[9:10]
	;; [unrolled: 2-line block ×3, first 2 shown]
	v_mul_f64_e32 v[13:14], v[36:37], v[13:14]
	s_wait_loadcnt_dscnt 0x1
	v_mul_f64_e32 v[52:53], v[40:41], v[17:18]
	v_mul_f64_e32 v[54:55], v[38:39], v[17:18]
	;; [unrolled: 1-line block ×4, first 2 shown]
	v_lshrrev_b32_e32 v9, 2, v86
	v_and_b32_e32 v10, 63, v87
	s_delay_alu instid0(VALU_DEP_2) | instskip(NEXT) | instid1(VALU_DEP_1)
	v_and_b32_e32 v9, 0x3f0, v9
	v_add_nc_u32_e32 v9, s3, v9
	ds_load_b128 v[17:20], v2 offset:20000
	ds_load_b128 v[21:24], v9 offset:1024
	v_lshl_add_u32 v2, v10, 4, 0
	v_and_b32_e32 v9, 0x3f0, v58
	v_lshrrev_b32_e32 v10, 8, v59
	s_delay_alu instid0(VALU_DEP_2) | instskip(NEXT) | instid1(VALU_DEP_2)
	v_add_nc_u32_e32 v64, s3, v9
	v_and_b32_e32 v70, 0x3f0, v10
	v_fma_f64 v[58:59], v[26:27], v[3:4], -v[46:47]
	v_fma_f64 v[60:61], v[30:31], v[7:8], -v[48:49]
	v_and_b32_e32 v26, 0x3f0, v62
	v_fma_f64 v[50:51], v[36:37], v[11:12], v[50:51]
	v_fma_f64 v[62:63], v[34:35], v[11:12], -v[13:14]
	v_fma_f64 v[52:53], v[38:39], v[15:16], -v[52:53]
	v_fma_f64 v[54:55], v[40:41], v[15:16], v[54:55]
	v_fma_f64 v[66:67], v[28:29], v[3:4], v[5:6]
	;; [unrolled: 1-line block ×3, first 2 shown]
	v_lshrrev_b32_e32 v27, 2, v90
	ds_load_b128 v[9:12], v2 offset:20000
	ds_load_b128 v[13:16], v64 offset:1024
	v_lshl_add_u32 v2, v69, 4, 0
	v_add_nc_u32_e32 v8, s3, v26
	s_wait_dscnt 0x2
	v_mul_f64_e32 v[64:65], v[19:20], v[23:24]
	v_mul_f64_e32 v[6:7], v[17:18], v[23:24]
	v_and_b32_e32 v24, 0x3f0, v27
	ds_load_b128 v[2:5], v2 offset:20000
	ds_load_b128 v[26:29], v8 offset:1024
	v_and_b32_e32 v23, 63, v90
	v_add_nc_u32_e32 v46, v90, v68
	s_delay_alu instid0(VALU_DEP_2)
	v_lshl_add_u32 v8, v23, 4, 0
	v_add_nc_u32_e32 v23, s3, v24
	v_add_nc_u32_e32 v24, s3, v70
	ds_load_b128 v[30:33], v8 offset:20000
	ds_load_b128 v[34:37], v23 offset:1024
	v_lshrrev_b32_e32 v47, 8, v46
	ds_load_b128 v[38:41], v24 offset:2048
	s_wait_dscnt 0x5
	v_mul_f64_e32 v[23:24], v[11:12], v[15:16]
	v_mul_f64_e32 v[68:69], v[9:10], v[15:16]
	v_lshrrev_b32_e32 v8, 2, v46
	v_and_b32_e32 v47, 0x3f0, v47
	v_and_b32_e32 v15, 63, v46
	s_wait_dscnt 0x3
	v_mul_f64_e32 v[72:73], v[4:5], v[28:29]
	v_mul_f64_e32 v[28:29], v[2:3], v[28:29]
	v_and_b32_e32 v8, 0x3f0, v8
	v_add_f64_e32 v[70:71], v[58:59], v[60:61]
	v_add_nc_u32_e32 v16, s3, v47
	v_lshl_add_u32 v15, v15, 4, 0
	v_add_f64_e32 v[74:75], v[62:63], v[52:53]
	v_add_f64_e32 v[76:77], v[50:51], v[54:55]
	v_add_nc_u32_e32 v8, s3, v8
	v_add_f64_e32 v[80:81], v[66:67], v[56:57]
	ds_load_b128 v[46:49], v16 offset:2048
	s_wait_dscnt 0x2
	v_mul_f64_e32 v[78:79], v[32:33], v[36:37]
	v_mul_f64_e32 v[36:37], v[30:31], v[36:37]
	v_add_f64_e64 v[84:85], v[66:67], -v[56:57]
	v_fma_f64 v[64:65], v[17:18], v[21:22], -v[64:65]
	v_fma_f64 v[82:83], v[21:22], v[19:20], v[6:7]
	ds_load_b128 v[15:18], v15 offset:20000
	ds_load_b128 v[19:22], v8 offset:1024
	v_add_f64_e32 v[6:7], v[44:45], v[66:67]
	v_add_f64_e64 v[88:89], v[52:53], -v[60:61]
	v_fma_f64 v[23:24], v[9:10], v[13:14], -v[23:24]
	v_fma_f64 v[68:69], v[11:12], v[13:14], v[68:69]
	v_add_f64_e32 v[12:13], v[42:43], v[58:59]
	v_lshrrev_b32_e32 v14, 8, v87
	s_wait_dscnt 0x0
	v_mul_f64_e32 v[8:9], v[17:18], v[21:22]
	v_mul_f64_e32 v[10:11], v[15:16], v[21:22]
	v_add_f64_e64 v[21:22], v[50:51], -v[54:55]
	v_fma_f64 v[72:73], v[2:3], v[26:27], -v[72:73]
	v_fma_f64 v[70:71], v[70:71], -0.5, v[42:43]
	v_fma_f64 v[26:27], v[4:5], v[26:27], v[28:29]
	v_add_f64_e64 v[28:29], v[58:59], -v[60:61]
	v_lshrrev_b32_e32 v2, 8, v86
	v_fma_f64 v[42:43], v[74:75], -0.5, v[42:43]
	v_fma_f64 v[74:75], v[76:77], -0.5, v[44:45]
	v_add_f64_e64 v[76:77], v[62:63], -v[52:53]
	v_fma_f64 v[44:45], v[80:81], -0.5, v[44:45]
	v_add_f64_e64 v[80:81], v[60:61], -v[52:53]
	v_fma_f64 v[30:31], v[30:31], v[34:35], -v[78:79]
	v_fma_f64 v[32:33], v[32:33], v[34:35], v[36:37]
	v_add_f64_e64 v[34:35], v[66:67], -v[50:51]
	v_add_f64_e64 v[36:37], v[56:57], -v[54:55]
	;; [unrolled: 1-line block ×5, first 2 shown]
	v_add_f64_e32 v[50:51], v[6:7], v[50:51]
	v_add_f64_e64 v[86:87], v[54:55], -v[56:57]
	v_lshrrev_b32_e32 v6, 8, v90
	v_and_b32_e32 v7, 0x3f0, v14
	v_and_b32_e32 v2, 0x3f0, v2
	s_delay_alu instid0(VALU_DEP_3) | instskip(NEXT) | instid1(VALU_DEP_3)
	v_and_b32_e32 v6, 0x3f0, v6
	v_add_nc_u32_e32 v7, s3, v7
	s_delay_alu instid0(VALU_DEP_3)
	v_add_nc_u32_e32 v2, s3, v2
	ds_load_b128 v[2:5], v2 offset:2048
	v_add_f64_e32 v[62:63], v[12:13], v[62:63]
	v_fma_f64 v[14:15], v[15:16], v[19:20], -v[8:9]
	v_fma_f64 v[16:17], v[17:18], v[19:20], v[10:11]
	v_add_nc_u32_e32 v10, s3, v6
	ds_load_b128 v[6:9], v7 offset:2048
	v_fma_f64 v[90:91], v[21:22], s[16:17], v[70:71]
	v_fma_f64 v[70:71], v[21:22], s[20:21], v[70:71]
	s_mul_i32 s3, s6, s14
	ds_load_b128 v[10:13], v10 offset:2048
	v_fma_f64 v[18:19], v[84:85], s[20:21], v[42:43]
	v_fma_f64 v[92:93], v[28:29], s[16:17], v[74:75]
	;; [unrolled: 1-line block ×6, first 2 shown]
	s_wait_alu 0xfffe
	s_add_co_i32 s2, s2, s3
	v_add_f64_e32 v[34:35], v[34:35], v[36:37]
	v_add_f64_e32 v[36:37], v[78:79], v[80:81]
	s_wait_dscnt 0x2
	v_mul_f64_e32 v[78:79], v[4:5], v[64:65]
	v_add_f64_e32 v[58:59], v[58:59], v[88:89]
	v_add_f64_e32 v[50:51], v[50:51], v[54:55]
	;; [unrolled: 1-line block ×3, first 2 shown]
	v_mul_f64_e32 v[54:55], v[72:73], v[40:41]
	s_wait_dscnt 0x1
	v_mul_f64_e32 v[80:81], v[23:24], v[8:9]
	v_mul_f64_e32 v[4:5], v[4:5], v[82:83]
	;; [unrolled: 1-line block ×4, first 2 shown]
	s_wait_alu 0xfffe
	s_add_co_i32 s5, s5, s2
	v_add_f64_e32 v[52:53], v[62:63], v[52:53]
	s_wait_dscnt 0x0
	v_mul_f64_e32 v[62:63], v[30:31], v[12:13]
	v_mul_f64_e32 v[12:13], v[32:33], v[12:13]
	v_fma_f64 v[86:87], v[84:85], s[24:25], v[90:91]
	v_fma_f64 v[70:71], v[84:85], s[22:23], v[70:71]
	v_mul_f64_e32 v[84:85], v[14:15], v[48:49]
	v_mul_f64_e32 v[48:49], v[16:17], v[48:49]
	v_fma_f64 v[18:19], v[21:22], s[24:25], v[18:19]
	v_fma_f64 v[88:89], v[76:77], s[22:23], v[92:93]
	;; [unrolled: 1-line block ×7, first 2 shown]
	v_add_f64_e32 v[50:51], v[50:51], v[56:57]
	v_fma_f64 v[26:27], v[38:39], v[26:27], v[54:55]
	v_fma_f64 v[68:69], v[6:7], v[68:69], v[80:81]
	v_fma_f64 v[4:5], v[2:3], v[64:65], -v[4:5]
	v_fma_f64 v[22:23], v[6:7], v[23:24], -v[8:9]
	;; [unrolled: 1-line block ×3, first 2 shown]
	v_add_nc_u32_e32 v24, 25, v0
	v_add_f64_e32 v[52:53], v[52:53], v[60:61]
	v_fma_f64 v[32:33], v[10:11], v[32:33], v[62:63]
	v_fma_f64 v[12:13], v[10:11], v[30:31], -v[12:13]
	v_fma_f64 v[56:57], v[58:59], s[18:19], v[86:87]
	v_fma_f64 v[58:59], v[58:59], s[18:19], v[70:71]
	;; [unrolled: 1-line block ×3, first 2 shown]
	v_fma_f64 v[30:31], v[46:47], v[14:15], -v[48:49]
	v_fma_f64 v[54:55], v[36:37], s[18:19], v[18:19]
	v_fma_f64 v[18:19], v[34:35], s[18:19], v[88:89]
	;; [unrolled: 1-line block ×6, first 2 shown]
	v_add_nc_u32_e32 v46, 0x4b, v0
	v_add_nc_u32_e32 v47, 0x64, v0
	v_mul_lo_u32 v48, s4, v24
	v_mul_f64_e32 v[6:7], v[50:51], v[44:45]
	v_mul_f64_e32 v[2:3], v[52:53], v[44:45]
	v_mul_lo_u32 v44, s6, v25
	v_add_nc_u32_e32 v45, 50, v0
	v_mov_b32_e32 v25, 0
	s_delay_alu instid0(VALU_DEP_2)
	v_mul_lo_u32 v45, s4, v45
	v_mul_f64_e32 v[14:15], v[56:57], v[26:27]
	v_mul_f64_e32 v[40:41], v[58:59], v[32:33]
	s_wait_alu 0xfffe
	v_add3_u32 v24, v44, v1, s5
	v_mul_f64_e32 v[10:11], v[54:55], v[68:69]
	v_mul_f64_e32 v[38:39], v[18:19], v[68:69]
	;; [unrolled: 1-line block ×6, first 2 shown]
	v_fma_f64 v[0:1], v[52:53], v[4:5], -v[6:7]
	v_fma_f64 v[2:3], v[50:51], v[4:5], v[2:3]
	v_fma_f64 v[6:7], v[18:19], v[22:23], v[10:11]
	;; [unrolled: 1-line block ×4, first 2 shown]
	v_fma_f64 v[16:17], v[20:21], v[30:31], -v[16:17]
	v_fma_f64 v[14:15], v[36:37], v[12:13], v[40:41]
	v_fma_f64 v[12:13], v[58:59], v[12:13], -v[32:33]
	v_fma_f64 v[8:9], v[56:57], v[8:9], -v[26:27]
	;; [unrolled: 1-line block ×3, first 2 shown]
	v_lshlrev_b64_e32 v[20:21], 4, v[24:25]
	v_add3_u32 v24, v44, v48, s5
	v_mul_lo_u32 v28, s4, v46
	v_mul_lo_u32 v30, s4, v47
	s_delay_alu instid0(VALU_DEP_3)
	v_lshlrev_b64_e32 v[22:23], 4, v[24:25]
	v_add3_u32 v24, v44, v45, s5
	s_wait_kmcnt 0x0
	v_add_co_u32 v20, vcc_lo, s0, v20
	s_wait_alu 0xfffd
	v_add_co_ci_u32_e32 v21, vcc_lo, s1, v21, vcc_lo
	v_lshlrev_b64_e32 v[26:27], 4, v[24:25]
	v_add3_u32 v24, v44, v28, s5
	v_add_co_u32 v22, vcc_lo, s0, v22
	s_wait_alu 0xfffd
	v_add_co_ci_u32_e32 v23, vcc_lo, s1, v23, vcc_lo
	s_delay_alu instid0(VALU_DEP_3) | instskip(SKIP_4) | instid1(VALU_DEP_3)
	v_lshlrev_b64_e32 v[28:29], 4, v[24:25]
	v_add3_u32 v24, v44, v30, s5
	v_add_co_u32 v26, vcc_lo, s0, v26
	s_wait_alu 0xfffd
	v_add_co_ci_u32_e32 v27, vcc_lo, s1, v27, vcc_lo
	v_lshlrev_b64_e32 v[24:25], 4, v[24:25]
	v_add_co_u32 v28, vcc_lo, s0, v28
	s_wait_alu 0xfffd
	v_add_co_ci_u32_e32 v29, vcc_lo, s1, v29, vcc_lo
	s_delay_alu instid0(VALU_DEP_3)
	v_add_co_u32 v24, vcc_lo, s0, v24
	s_wait_alu 0xfffd
	v_add_co_ci_u32_e32 v25, vcc_lo, s1, v25, vcc_lo
	s_clause 0x4
	global_store_b128 v[20:21], v[0:3], off
	global_store_b128 v[22:23], v[16:19], off
	;; [unrolled: 1-line block ×5, first 2 shown]
.LBB0_20:
	s_nop 0
	s_sendmsg sendmsg(MSG_DEALLOC_VGPRS)
	s_endpgm
	.section	.rodata,"a",@progbits
	.p2align	6, 0x0
	.amdhsa_kernel fft_rtc_fwd_len125_factors_5_5_5_wgs_250_tpt_25_dim3_dp_op_CI_CI_sbcc_twdbase6_3step_dirReg_intrinsicReadWrite
		.amdhsa_group_segment_fixed_size 0
		.amdhsa_private_segment_fixed_size 0
		.amdhsa_kernarg_size 104
		.amdhsa_user_sgpr_count 2
		.amdhsa_user_sgpr_dispatch_ptr 0
		.amdhsa_user_sgpr_queue_ptr 0
		.amdhsa_user_sgpr_kernarg_segment_ptr 1
		.amdhsa_user_sgpr_dispatch_id 0
		.amdhsa_user_sgpr_private_segment_size 0
		.amdhsa_wavefront_size32 1
		.amdhsa_uses_dynamic_stack 0
		.amdhsa_enable_private_segment 0
		.amdhsa_system_sgpr_workgroup_id_x 1
		.amdhsa_system_sgpr_workgroup_id_y 0
		.amdhsa_system_sgpr_workgroup_id_z 0
		.amdhsa_system_sgpr_workgroup_info 0
		.amdhsa_system_vgpr_workitem_id 0
		.amdhsa_next_free_vgpr 96
		.amdhsa_next_free_sgpr 28
		.amdhsa_reserve_vcc 1
		.amdhsa_float_round_mode_32 0
		.amdhsa_float_round_mode_16_64 0
		.amdhsa_float_denorm_mode_32 3
		.amdhsa_float_denorm_mode_16_64 3
		.amdhsa_fp16_overflow 0
		.amdhsa_workgroup_processor_mode 1
		.amdhsa_memory_ordered 1
		.amdhsa_forward_progress 0
		.amdhsa_round_robin_scheduling 0
		.amdhsa_exception_fp_ieee_invalid_op 0
		.amdhsa_exception_fp_denorm_src 0
		.amdhsa_exception_fp_ieee_div_zero 0
		.amdhsa_exception_fp_ieee_overflow 0
		.amdhsa_exception_fp_ieee_underflow 0
		.amdhsa_exception_fp_ieee_inexact 0
		.amdhsa_exception_int_div_zero 0
	.end_amdhsa_kernel
	.text
.Lfunc_end0:
	.size	fft_rtc_fwd_len125_factors_5_5_5_wgs_250_tpt_25_dim3_dp_op_CI_CI_sbcc_twdbase6_3step_dirReg_intrinsicReadWrite, .Lfunc_end0-fft_rtc_fwd_len125_factors_5_5_5_wgs_250_tpt_25_dim3_dp_op_CI_CI_sbcc_twdbase6_3step_dirReg_intrinsicReadWrite
                                        ; -- End function
	.section	.AMDGPU.csdata,"",@progbits
; Kernel info:
; codeLenInByte = 4964
; NumSgprs: 30
; NumVgprs: 96
; ScratchSize: 0
; MemoryBound: 0
; FloatMode: 240
; IeeeMode: 1
; LDSByteSize: 0 bytes/workgroup (compile time only)
; SGPRBlocks: 3
; VGPRBlocks: 11
; NumSGPRsForWavesPerEU: 30
; NumVGPRsForWavesPerEU: 96
; Occupancy: 16
; WaveLimiterHint : 1
; COMPUTE_PGM_RSRC2:SCRATCH_EN: 0
; COMPUTE_PGM_RSRC2:USER_SGPR: 2
; COMPUTE_PGM_RSRC2:TRAP_HANDLER: 0
; COMPUTE_PGM_RSRC2:TGID_X_EN: 1
; COMPUTE_PGM_RSRC2:TGID_Y_EN: 0
; COMPUTE_PGM_RSRC2:TGID_Z_EN: 0
; COMPUTE_PGM_RSRC2:TIDIG_COMP_CNT: 0
	.text
	.p2alignl 7, 3214868480
	.fill 96, 4, 3214868480
	.type	__hip_cuid_5c357e63ab19b3eb,@object ; @__hip_cuid_5c357e63ab19b3eb
	.section	.bss,"aw",@nobits
	.globl	__hip_cuid_5c357e63ab19b3eb
__hip_cuid_5c357e63ab19b3eb:
	.byte	0                               ; 0x0
	.size	__hip_cuid_5c357e63ab19b3eb, 1

	.ident	"AMD clang version 19.0.0git (https://github.com/RadeonOpenCompute/llvm-project roc-6.4.0 25133 c7fe45cf4b819c5991fe208aaa96edf142730f1d)"
	.section	".note.GNU-stack","",@progbits
	.addrsig
	.addrsig_sym __hip_cuid_5c357e63ab19b3eb
	.amdgpu_metadata
---
amdhsa.kernels:
  - .args:
      - .actual_access:  read_only
        .address_space:  global
        .offset:         0
        .size:           8
        .value_kind:     global_buffer
      - .address_space:  global
        .offset:         8
        .size:           8
        .value_kind:     global_buffer
      - .actual_access:  read_only
        .address_space:  global
        .offset:         16
        .size:           8
        .value_kind:     global_buffer
      - .actual_access:  read_only
        .address_space:  global
        .offset:         24
        .size:           8
        .value_kind:     global_buffer
      - .actual_access:  read_only
        .address_space:  global
        .offset:         32
        .size:           8
        .value_kind:     global_buffer
      - .offset:         40
        .size:           8
        .value_kind:     by_value
      - .actual_access:  read_only
        .address_space:  global
        .offset:         48
        .size:           8
        .value_kind:     global_buffer
      - .actual_access:  read_only
        .address_space:  global
        .offset:         56
        .size:           8
        .value_kind:     global_buffer
      - .offset:         64
        .size:           4
        .value_kind:     by_value
      - .actual_access:  read_only
        .address_space:  global
        .offset:         72
        .size:           8
        .value_kind:     global_buffer
      - .actual_access:  read_only
        .address_space:  global
        .offset:         80
        .size:           8
        .value_kind:     global_buffer
      - .actual_access:  read_only
        .address_space:  global
        .offset:         88
        .size:           8
        .value_kind:     global_buffer
      - .actual_access:  write_only
        .address_space:  global
        .offset:         96
        .size:           8
        .value_kind:     global_buffer
    .group_segment_fixed_size: 0
    .kernarg_segment_align: 8
    .kernarg_segment_size: 104
    .language:       OpenCL C
    .language_version:
      - 2
      - 0
    .max_flat_workgroup_size: 250
    .name:           fft_rtc_fwd_len125_factors_5_5_5_wgs_250_tpt_25_dim3_dp_op_CI_CI_sbcc_twdbase6_3step_dirReg_intrinsicReadWrite
    .private_segment_fixed_size: 0
    .sgpr_count:     30
    .sgpr_spill_count: 0
    .symbol:         fft_rtc_fwd_len125_factors_5_5_5_wgs_250_tpt_25_dim3_dp_op_CI_CI_sbcc_twdbase6_3step_dirReg_intrinsicReadWrite.kd
    .uniform_work_group_size: 1
    .uses_dynamic_stack: false
    .vgpr_count:     96
    .vgpr_spill_count: 0
    .wavefront_size: 32
    .workgroup_processor_mode: 1
amdhsa.target:   amdgcn-amd-amdhsa--gfx1201
amdhsa.version:
  - 1
  - 2
...

	.end_amdgpu_metadata
